;; amdgpu-corpus repo=ROCm/rocFFT kind=compiled arch=gfx906 opt=O3
	.text
	.amdgcn_target "amdgcn-amd-amdhsa--gfx906"
	.amdhsa_code_object_version 6
	.protected	fft_rtc_back_len112_factors_4_7_4_wgs_448_tpt_28_dp_op_CI_CI_sbcc ; -- Begin function fft_rtc_back_len112_factors_4_7_4_wgs_448_tpt_28_dp_op_CI_CI_sbcc
	.globl	fft_rtc_back_len112_factors_4_7_4_wgs_448_tpt_28_dp_op_CI_CI_sbcc
	.p2align	8
	.type	fft_rtc_back_len112_factors_4_7_4_wgs_448_tpt_28_dp_op_CI_CI_sbcc,@function
fft_rtc_back_len112_factors_4_7_4_wgs_448_tpt_28_dp_op_CI_CI_sbcc: ; @fft_rtc_back_len112_factors_4_7_4_wgs_448_tpt_28_dp_op_CI_CI_sbcc
; %bb.0:
	s_load_dwordx4 s[0:3], s[4:5], 0x18
	s_load_dwordx2 s[26:27], s[4:5], 0x28
	s_mov_b32 s7, 0
	s_mov_b64 s[20:21], 0
	s_waitcnt lgkmcnt(0)
	s_load_dwordx2 s[24:25], s[0:1], 0x8
	s_waitcnt lgkmcnt(0)
	s_add_u32 s8, s24, -1
	s_addc_u32 s9, s25, -1
	s_lshr_b64 s[8:9], s[8:9], 4
	s_add_u32 s28, s8, 1
	s_addc_u32 s29, s9, 0
	v_mov_b32_e32 v1, s28
	v_mov_b32_e32 v2, s29
	v_cmp_lt_u64_e32 vcc, s[6:7], v[1:2]
	s_cbranch_vccnz .LBB0_2
; %bb.1:
	v_cvt_f32_u32_e32 v1, s28
	s_sub_i32 s8, 0, s28
	s_mov_b32 s21, s7
	v_rcp_iflag_f32_e32 v1, v1
	v_mul_f32_e32 v1, 0x4f7ffffe, v1
	v_cvt_u32_f32_e32 v1, v1
	v_readfirstlane_b32 s9, v1
	s_mul_i32 s8, s8, s9
	s_mul_hi_u32 s8, s9, s8
	s_add_i32 s9, s9, s8
	s_mul_hi_u32 s8, s6, s9
	s_mul_i32 s10, s8, s28
	s_sub_i32 s10, s6, s10
	s_add_i32 s9, s8, 1
	s_sub_i32 s11, s10, s28
	s_cmp_ge_u32 s10, s28
	s_cselect_b32 s8, s9, s8
	s_cselect_b32 s10, s11, s10
	s_add_i32 s9, s8, 1
	s_cmp_ge_u32 s10, s28
	s_cselect_b32 s20, s9, s8
.LBB0_2:
	s_mul_i32 s22, s20, s29
	s_mul_hi_u32 s23, s20, s28
	s_load_dwordx4 s[12:15], s[4:5], 0x60
	s_load_dwordx4 s[16:19], s[2:3], 0x0
	;; [unrolled: 1-line block ×3, first 2 shown]
	s_add_i32 s23, s23, s22
	s_mul_i32 s22, s20, s28
	s_sub_u32 s34, s6, s22
	s_subb_u32 s35, 0, s23
	v_mov_b32_e32 v1, s34
	v_alignbit_b32 v1, s35, v1, 28
	s_waitcnt lgkmcnt(0)
	v_mul_lo_u32 v2, s18, v1
	s_load_dwordx2 s[22:23], s[4:5], 0x0
	s_load_dwordx2 s[30:31], s[4:5], 0x10
	s_lshl_b64 s[4:5], s[34:35], 4
	s_mul_hi_u32 s33, s18, s4
	v_mul_lo_u32 v3, s10, v1
	v_add_u32_e32 v2, s33, v2
	s_mul_i32 s33, s19, s4
	v_add_u32_e32 v2, s33, v2
	s_mul_i32 s33, s18, s4
	v_mov_b32_e32 v1, s33
	s_mul_hi_u32 s33, s10, s4
	v_add_u32_e32 v3, s33, v3
	s_mul_i32 s33, s11, s4
	s_waitcnt lgkmcnt(0)
	v_cmp_lt_u64_e64 s[34:35], s[30:31], 3
	v_add_u32_e32 v29, s33, v3
	s_mul_i32 s33, s10, s4
	v_mov_b32_e32 v28, s33
	s_and_b64 vcc, exec, s[34:35]
	s_cbranch_vccnz .LBB0_11
; %bb.3:
	s_add_u32 s34, s26, 16
	s_addc_u32 s35, s27, 0
	s_add_u32 s36, s2, 16
	s_addc_u32 s37, s3, 0
	s_add_u32 s38, s0, 16
	v_mov_b32_e32 v3, s30
	s_addc_u32 s39, s1, 0
	s_mov_b64 s[40:41], 2
	s_mov_b32 s42, 0
	v_mov_b32_e32 v4, s31
	s_branch .LBB0_5
.LBB0_4:                                ;   in Loop: Header=BB0_5 Depth=1
	s_mul_i32 s29, s44, s29
	s_mul_hi_u32 s33, s44, s28
	s_add_i32 s29, s33, s29
	s_mul_i32 s33, s45, s28
	s_add_i32 s29, s29, s33
	s_mul_i32 s33, s0, s45
	s_mul_hi_u32 s43, s0, s44
	s_load_dwordx2 s[46:47], s[36:37], 0x0
	s_add_i32 s33, s43, s33
	s_mul_i32 s43, s1, s44
	s_add_i32 s33, s33, s43
	s_mul_i32 s43, s0, s44
	s_sub_u32 s43, s20, s43
	s_subb_u32 s33, s21, s33
	s_waitcnt lgkmcnt(0)
	s_mul_i32 s20, s46, s33
	s_mul_hi_u32 s21, s46, s43
	s_add_i32 s20, s21, s20
	s_mul_i32 s21, s47, s43
	s_add_i32 s20, s20, s21
	v_mov_b32_e32 v5, s20
	s_load_dwordx2 s[20:21], s[34:35], 0x0
	s_mul_i32 s28, s44, s28
	s_mul_i32 s44, s46, s43
	v_add_co_u32_e32 v1, vcc, s44, v1
	s_waitcnt lgkmcnt(0)
	s_mul_i32 s33, s20, s33
	s_mul_hi_u32 s44, s20, s43
	s_add_i32 s33, s44, s33
	s_mul_i32 s21, s21, s43
	s_add_i32 s21, s33, s21
	s_add_u32 s40, s40, 1
	s_addc_u32 s41, s41, 0
	v_addc_co_u32_e32 v2, vcc, v5, v2, vcc
	s_mul_i32 s20, s20, s43
	s_add_u32 s34, s34, 8
	v_mov_b32_e32 v5, s21
	v_add_co_u32_e32 v28, vcc, s20, v28
	s_addc_u32 s35, s35, 0
	v_addc_co_u32_e32 v29, vcc, v5, v29, vcc
	s_add_u32 s36, s36, 8
	s_addc_u32 s37, s37, 0
	v_cmp_ge_u64_e32 vcc, s[40:41], v[3:4]
	s_add_u32 s38, s38, 8
	s_addc_u32 s39, s39, 0
	s_mov_b64 s[20:21], s[0:1]
	s_cbranch_vccnz .LBB0_9
.LBB0_5:                                ; =>This Inner Loop Header: Depth=1
	s_load_dwordx2 s[44:45], s[38:39], 0x0
	s_waitcnt lgkmcnt(0)
	s_or_b64 s[0:1], s[20:21], s[44:45]
	s_mov_b32 s43, s1
	s_cmp_lg_u64 s[42:43], 0
	s_cbranch_scc0 .LBB0_7
; %bb.6:                                ;   in Loop: Header=BB0_5 Depth=1
	v_cvt_f32_u32_e32 v5, s44
	v_cvt_f32_u32_e32 v6, s45
	s_sub_u32 s0, 0, s44
	s_subb_u32 s1, 0, s45
	v_mac_f32_e32 v5, 0x4f800000, v6
	v_rcp_f32_e32 v5, v5
	v_mul_f32_e32 v5, 0x5f7ffffc, v5
	v_mul_f32_e32 v6, 0x2f800000, v5
	v_trunc_f32_e32 v6, v6
	v_mac_f32_e32 v5, 0xcf800000, v6
	v_cvt_u32_f32_e32 v6, v6
	v_cvt_u32_f32_e32 v5, v5
	v_readfirstlane_b32 s33, v6
	v_readfirstlane_b32 s43, v5
	s_mul_i32 s46, s0, s33
	s_mul_hi_u32 s48, s0, s43
	s_mul_i32 s47, s1, s43
	s_add_i32 s46, s48, s46
	s_mul_i32 s49, s0, s43
	s_add_i32 s46, s46, s47
	s_mul_hi_u32 s47, s43, s46
	s_mul_i32 s48, s43, s46
	s_mul_hi_u32 s43, s43, s49
	s_add_u32 s43, s43, s48
	s_addc_u32 s47, 0, s47
	s_mul_hi_u32 s50, s33, s49
	s_mul_i32 s49, s33, s49
	s_add_u32 s43, s43, s49
	s_mul_hi_u32 s48, s33, s46
	s_addc_u32 s43, s47, s50
	s_addc_u32 s47, s48, 0
	s_mul_i32 s46, s33, s46
	s_add_u32 s43, s43, s46
	s_addc_u32 s46, 0, s47
	v_add_co_u32_e32 v5, vcc, s43, v5
	s_cmp_lg_u64 vcc, 0
	s_addc_u32 s33, s33, s46
	v_readfirstlane_b32 s46, v5
	s_mul_i32 s43, s0, s33
	s_mul_hi_u32 s47, s0, s46
	s_add_i32 s43, s47, s43
	s_mul_i32 s1, s1, s46
	s_add_i32 s43, s43, s1
	s_mul_i32 s0, s0, s46
	s_mul_hi_u32 s47, s33, s0
	s_mul_i32 s48, s33, s0
	s_mul_i32 s50, s46, s43
	s_mul_hi_u32 s0, s46, s0
	s_mul_hi_u32 s49, s46, s43
	s_add_u32 s0, s0, s50
	s_addc_u32 s46, 0, s49
	s_add_u32 s0, s0, s48
	s_mul_hi_u32 s1, s33, s43
	s_addc_u32 s0, s46, s47
	s_addc_u32 s1, s1, 0
	s_mul_i32 s43, s33, s43
	s_add_u32 s0, s0, s43
	s_addc_u32 s1, 0, s1
	v_add_co_u32_e32 v5, vcc, s0, v5
	s_cmp_lg_u64 vcc, 0
	s_addc_u32 s0, s33, s1
	v_readfirstlane_b32 s43, v5
	s_mul_i32 s33, s20, s0
	s_mul_hi_u32 s46, s20, s43
	s_mul_hi_u32 s1, s20, s0
	s_add_u32 s33, s46, s33
	s_addc_u32 s1, 0, s1
	s_mul_hi_u32 s47, s21, s43
	s_mul_i32 s43, s21, s43
	s_add_u32 s33, s33, s43
	s_mul_hi_u32 s46, s21, s0
	s_addc_u32 s1, s1, s47
	s_addc_u32 s33, s46, 0
	s_mul_i32 s0, s21, s0
	s_add_u32 s43, s1, s0
	s_addc_u32 s33, 0, s33
	s_mul_i32 s0, s44, s33
	s_mul_hi_u32 s1, s44, s43
	s_add_i32 s0, s1, s0
	s_mul_i32 s1, s45, s43
	s_add_i32 s46, s0, s1
	s_mul_i32 s1, s44, s43
	v_mov_b32_e32 v5, s1
	s_sub_i32 s0, s21, s46
	v_sub_co_u32_e32 v5, vcc, s20, v5
	s_cmp_lg_u64 vcc, 0
	s_subb_u32 s47, s0, s45
	v_subrev_co_u32_e64 v6, s[0:1], s44, v5
	s_cmp_lg_u64 s[0:1], 0
	s_subb_u32 s0, s47, 0
	s_cmp_ge_u32 s0, s45
	v_readfirstlane_b32 s47, v6
	s_cselect_b32 s1, -1, 0
	s_cmp_ge_u32 s47, s44
	s_cselect_b32 s47, -1, 0
	s_cmp_eq_u32 s0, s45
	s_cselect_b32 s0, s47, s1
	s_add_u32 s1, s43, 1
	s_addc_u32 s47, s33, 0
	s_add_u32 s48, s43, 2
	s_addc_u32 s49, s33, 0
	s_cmp_lg_u32 s0, 0
	s_cselect_b32 s0, s48, s1
	s_cselect_b32 s1, s49, s47
	s_cmp_lg_u64 vcc, 0
	s_subb_u32 s46, s21, s46
	s_cmp_ge_u32 s46, s45
	v_readfirstlane_b32 s48, v5
	s_cselect_b32 s47, -1, 0
	s_cmp_ge_u32 s48, s44
	s_cselect_b32 s48, -1, 0
	s_cmp_eq_u32 s46, s45
	s_cselect_b32 s46, s48, s47
	s_cmp_lg_u32 s46, 0
	s_cselect_b32 s1, s1, s33
	s_cselect_b32 s0, s0, s43
	s_cbranch_execnz .LBB0_4
	s_branch .LBB0_8
.LBB0_7:                                ;   in Loop: Header=BB0_5 Depth=1
                                        ; implicit-def: $sgpr0_sgpr1
.LBB0_8:                                ;   in Loop: Header=BB0_5 Depth=1
	v_cvt_f32_u32_e32 v5, s44
	s_sub_i32 s0, 0, s44
	v_rcp_iflag_f32_e32 v5, v5
	v_mul_f32_e32 v5, 0x4f7ffffe, v5
	v_cvt_u32_f32_e32 v5, v5
	v_readfirstlane_b32 s1, v5
	s_mul_i32 s0, s0, s1
	s_mul_hi_u32 s0, s1, s0
	s_add_i32 s1, s1, s0
	s_mul_hi_u32 s0, s20, s1
	s_mul_i32 s33, s0, s44
	s_sub_i32 s33, s20, s33
	s_add_i32 s1, s0, 1
	s_sub_i32 s43, s33, s44
	s_cmp_ge_u32 s33, s44
	s_cselect_b32 s0, s1, s0
	s_cselect_b32 s33, s43, s33
	s_add_i32 s1, s0, 1
	s_cmp_ge_u32 s33, s44
	s_cselect_b32 s0, s1, s0
	s_mov_b32 s1, s42
	s_branch .LBB0_4
.LBB0_9:
	v_mov_b32_e32 v3, s28
	v_mov_b32_e32 v4, s29
	v_cmp_lt_u64_e32 vcc, s[6:7], v[3:4]
	s_mov_b64 s[20:21], 0
	s_cbranch_vccnz .LBB0_11
; %bb.10:
	v_cvt_f32_u32_e32 v3, s28
	s_sub_i32 s0, 0, s28
	v_rcp_iflag_f32_e32 v3, v3
	v_mul_f32_e32 v3, 0x4f7ffffe, v3
	v_cvt_u32_f32_e32 v3, v3
	v_readfirstlane_b32 s1, v3
	s_mul_i32 s0, s0, s1
	s_mul_hi_u32 s0, s1, s0
	s_add_i32 s1, s1, s0
	s_mul_hi_u32 s0, s6, s1
	s_mul_i32 s7, s0, s28
	s_sub_i32 s6, s6, s7
	s_add_i32 s1, s0, 1
	s_sub_i32 s7, s6, s28
	s_cmp_ge_u32 s6, s28
	s_cselect_b32 s0, s1, s0
	s_cselect_b32 s6, s7, s6
	s_add_i32 s1, s0, 1
	s_cmp_ge_u32 s6, s28
	s_cselect_b32 s20, s1, s0
.LBB0_11:
	s_lshl_b64 s[28:29], s[30:31], 3
	s_add_u32 s6, s26, s28
	s_addc_u32 s7, s27, s29
	s_add_u32 s0, s4, 16
	v_mov_b32_e32 v3, s24
	s_addc_u32 s1, s5, 0
	v_mov_b32_e32 v4, s25
	v_and_b32_e32 v33, 15, v0
	v_cmp_le_u64_e32 vcc, s[0:1], v[3:4]
	v_or_b32_e32 v3, s4, v33
	v_mov_b32_e32 v4, s5
	v_cmp_gt_u64_e64 s[0:1], s[24:25], v[3:4]
	v_lshrrev_b32_e32 v30, 4, v0
	s_or_b64 s[0:1], vcc, s[0:1]
	v_lshlrev_b32_e32 v34, 4, v30
	v_add_u32_e32 v32, 28, v30
	v_add_u32_e32 v31, 56, v30
	s_and_saveexec_b64 s[4:5], s[0:1]
	s_cbranch_execz .LBB0_13
; %bb.12:
	s_add_u32 s2, s2, s28
	s_addc_u32 s3, s3, s29
	s_load_dwordx2 s[2:3], s[2:3], 0x0
	v_mad_u64_u32 v[3:4], s[24:25], s18, v33, 0
	v_mad_u64_u32 v[5:6], s[24:25], s16, v30, 0
	s_waitcnt lgkmcnt(0)
	s_mul_i32 s3, s3, s20
	s_mul_hi_u32 s21, s2, s20
	v_mad_u64_u32 v[7:8], s[18:19], s19, v33, v[4:5]
	v_mov_b32_e32 v4, v6
	v_mad_u64_u32 v[8:9], s[18:19], s17, v30, v[4:5]
	s_add_i32 s3, s21, s3
	s_mul_i32 s2, s2, s20
	s_lshl_b64 s[2:3], s[2:3], 4
	s_add_u32 s2, s12, s2
	v_lshlrev_b64 v[1:2], 4, v[1:2]
	s_addc_u32 s3, s13, s3
	v_mov_b32_e32 v4, v7
	v_mov_b32_e32 v6, v8
	;; [unrolled: 1-line block ×3, first 2 shown]
	v_add_co_u32_e32 v8, vcc, s2, v1
	v_addc_co_u32_e32 v7, vcc, v7, v2, vcc
	v_lshlrev_b64 v[1:2], 4, v[3:4]
	v_mad_u64_u32 v[3:4], s[2:3], s16, v32, 0
	v_add_co_u32_e32 v20, vcc, v8, v1
	v_addc_co_u32_e32 v21, vcc, v7, v2, vcc
	v_lshlrev_b64 v[1:2], 4, v[5:6]
	v_mad_u64_u32 v[4:5], s[2:3], s17, v32, v[4:5]
	v_mad_u64_u32 v[11:12], s[2:3], s16, v31, 0
	v_add_co_u32_e32 v9, vcc, v20, v1
	v_addc_co_u32_e32 v10, vcc, v21, v2, vcc
	v_lshlrev_b64 v[1:2], 4, v[3:4]
	v_add_u32_e32 v18, 0x54, v30
	v_add_co_u32_e32 v13, vcc, v20, v1
	v_mov_b32_e32 v1, v12
	v_mad_u64_u32 v[15:16], s[2:3], s17, v31, v[1:2]
	v_mad_u64_u32 v[16:17], s[2:3], s16, v18, 0
	v_mov_b32_e32 v12, v15
	v_addc_co_u32_e32 v14, vcc, v21, v2, vcc
	global_load_dwordx4 v[1:4], v[9:10], off
	global_load_dwordx4 v[5:8], v[13:14], off
	v_lshlrev_b64 v[9:10], 4, v[11:12]
	v_mov_b32_e32 v11, v17
	v_mad_u64_u32 v[11:12], s[2:3], s17, v18, v[11:12]
	v_add_co_u32_e32 v18, vcc, v20, v9
	v_mov_b32_e32 v17, v11
	v_addc_co_u32_e32 v19, vcc, v21, v10, vcc
	v_lshlrev_b64 v[9:10], 4, v[16:17]
	v_mul_u32_u24_e32 v17, 0x700, v33
	v_add_co_u32_e32 v20, vcc, v20, v9
	v_addc_co_u32_e32 v21, vcc, v21, v10, vcc
	global_load_dwordx4 v[9:12], v[18:19], off
	global_load_dwordx4 v[13:16], v[20:21], off
	v_add3_u32 v17, 0, v17, v34
	s_waitcnt vmcnt(3)
	ds_write_b128 v17, v[1:4]
	s_waitcnt vmcnt(2)
	ds_write_b128 v17, v[5:8] offset:448
	s_waitcnt vmcnt(1)
	ds_write_b128 v17, v[9:12] offset:896
	;; [unrolled: 2-line block ×3, first 2 shown]
.LBB0_13:
	s_or_b64 exec, exec, s[4:5]
	v_lshrrev_b16_e32 v1, 2, v0
	v_mul_u32_u24_e32 v1, 0x4925, v1
	v_lshrrev_b32_e32 v1, 17, v1
	v_and_b32_e32 v2, 15, v1
	v_mul_lo_u16_e32 v1, 28, v1
	v_mul_lo_u16_e32 v2, 0x70, v2
	v_sub_u16_e32 v37, v0, v1
	v_lshlrev_b32_e32 v38, 4, v2
	v_lshlrev_b32_e32 v0, 4, v37
	v_add3_u32 v35, 0, v0, v38
	s_load_dwordx2 s[2:3], s[6:7], 0x0
	s_waitcnt lgkmcnt(0)
	s_barrier
	v_add3_u32 v36, 0, v38, v0
	ds_read_b128 v[0:3], v35 offset:896
	ds_read_b128 v[4:7], v36
	ds_read_b128 v[8:11], v35 offset:448
	ds_read_b128 v[12:15], v35 offset:1344
	v_cmp_gt_u16_e32 vcc, 16, v37
	s_waitcnt lgkmcnt(0)
	v_add_f64 v[0:1], v[4:5], -v[0:1]
	v_add_f64 v[2:3], v[6:7], -v[2:3]
	;; [unrolled: 1-line block ×4, first 2 shown]
	s_barrier
	s_waitcnt lgkmcnt(0)
                                        ; implicit-def: $vgpr22_vgpr23
	v_fma_f64 v[16:17], v[4:5], 2.0, -v[0:1]
	v_fma_f64 v[18:19], v[6:7], 2.0, -v[2:3]
	;; [unrolled: 1-line block ×4, first 2 shown]
	v_add_f64 v[24:25], v[0:1], v[14:15]
	v_add_f64 v[26:27], v[2:3], -v[12:13]
	v_mad_u32_u24 v12, v37, 48, v35
                                        ; implicit-def: $vgpr14_vgpr15
	v_add_f64 v[8:9], v[16:17], -v[4:5]
	v_add_f64 v[10:11], v[18:19], -v[6:7]
	v_fma_f64 v[4:5], v[0:1], 2.0, -v[24:25]
	v_fma_f64 v[6:7], v[2:3], 2.0, -v[26:27]
	v_fma_f64 v[0:1], v[16:17], 2.0, -v[8:9]
	v_fma_f64 v[2:3], v[18:19], 2.0, -v[10:11]
	ds_write_b128 v12, v[24:27] offset:48
	ds_write_b128 v12, v[4:7] offset:16
	;; [unrolled: 1-line block ×3, first 2 shown]
	ds_write_b128 v12, v[0:3]
	s_waitcnt lgkmcnt(0)
	s_barrier
	s_waitcnt lgkmcnt(0)
                                        ; implicit-def: $vgpr18_vgpr19
	s_and_saveexec_b64 s[4:5], vcc
	s_cbranch_execz .LBB0_15
; %bb.14:
	ds_read_b128 v[0:3], v36
	ds_read_b128 v[4:7], v35 offset:256
	ds_read_b128 v[8:11], v35 offset:512
	;; [unrolled: 1-line block ×6, first 2 shown]
.LBB0_15:
	s_or_b64 exec, exec, s[4:5]
	s_waitcnt lgkmcnt(0)
	s_barrier
	s_and_saveexec_b64 s[4:5], vcc
	s_cbranch_execz .LBB0_17
; %bb.16:
	v_and_b32_e32 v39, 3, v37
	v_mul_u32_u24_e32 v40, 6, v39
	v_lshlrev_b32_e32 v46, 4, v40
	global_load_dwordx4 v[40:43], v46, s[22:23] offset:32
	s_mov_b32 s6, 0xe976ee23
	s_mov_b32 s7, 0x3fe11646
	;; [unrolled: 1-line block ×6, first 2 shown]
	v_lshrrev_b32_e32 v56, 2, v37
	s_waitcnt vmcnt(0)
	v_mul_f64 v[44:45], v[26:27], v[42:43]
	v_fma_f64 v[44:45], v[24:25], v[40:41], v[44:45]
	v_mul_f64 v[24:25], v[24:25], v[42:43]
	v_fma_f64 v[40:41], v[26:27], v[40:41], -v[24:25]
	global_load_dwordx4 v[24:27], v46, s[22:23] offset:16
	s_waitcnt vmcnt(0)
	v_mul_f64 v[42:43], v[10:11], v[26:27]
	v_fma_f64 v[42:43], v[8:9], v[24:25], v[42:43]
	v_mul_f64 v[8:9], v[8:9], v[26:27]
	v_fma_f64 v[24:25], v[10:11], v[24:25], -v[8:9]
	global_load_dwordx4 v[8:11], v46, s[22:23] offset:64
	s_waitcnt vmcnt(0)
	v_mul_f64 v[26:27], v[22:23], v[10:11]
	v_mul_f64 v[10:11], v[20:21], v[10:11]
	v_fma_f64 v[26:27], v[20:21], v[8:9], v[26:27]
	v_fma_f64 v[20:21], v[22:23], v[8:9], -v[10:11]
	global_load_dwordx4 v[8:11], v46, s[22:23]
	v_add_f64 v[48:49], v[42:43], v[26:27]
	v_add_f64 v[26:27], v[42:43], -v[26:27]
	s_waitcnt vmcnt(0)
	v_mul_f64 v[22:23], v[6:7], v[10:11]
	v_fma_f64 v[22:23], v[4:5], v[8:9], v[22:23]
	v_mul_f64 v[4:5], v[4:5], v[10:11]
	v_fma_f64 v[8:9], v[6:7], v[8:9], -v[4:5]
	global_load_dwordx4 v[4:7], v46, s[22:23] offset:80
	s_waitcnt vmcnt(0)
	v_mul_f64 v[10:11], v[18:19], v[6:7]
	v_mul_f64 v[6:7], v[16:17], v[6:7]
	v_fma_f64 v[10:11], v[16:17], v[4:5], v[10:11]
	v_fma_f64 v[16:17], v[18:19], v[4:5], -v[6:7]
	global_load_dwordx4 v[4:7], v46, s[22:23] offset:48
	v_add_f64 v[50:51], v[22:23], v[10:11]
	v_add_f64 v[10:11], v[22:23], -v[10:11]
	v_add_f64 v[54:55], v[48:49], v[50:51]
	s_waitcnt vmcnt(0)
	v_mul_f64 v[18:19], v[14:15], v[6:7]
	v_mul_f64 v[6:7], v[12:13], v[6:7]
	v_fma_f64 v[18:19], v[12:13], v[4:5], v[18:19]
	v_fma_f64 v[4:5], v[14:15], v[4:5], -v[6:7]
	v_add_f64 v[6:7], v[24:25], v[20:21]
	v_add_f64 v[20:21], v[24:25], -v[20:21]
	v_add_f64 v[12:13], v[8:9], v[16:17]
	v_add_f64 v[8:9], v[8:9], -v[16:17]
	v_add_f64 v[24:25], v[48:49], -v[50:51]
	v_add_f64 v[52:53], v[44:45], v[18:19]
	v_add_f64 v[18:19], v[18:19], -v[44:45]
	v_add_f64 v[14:15], v[40:41], v[4:5]
	v_add_f64 v[4:5], v[4:5], -v[40:41]
	v_add_f64 v[46:47], v[6:7], v[12:13]
	v_add_f64 v[22:23], v[50:51], -v[52:53]
	v_add_f64 v[40:41], v[18:19], v[26:27]
	v_add_f64 v[42:43], v[18:19], -v[26:27]
	v_add_f64 v[18:19], v[10:11], -v[18:19]
	;; [unrolled: 1-line block ×4, first 2 shown]
	v_add_f64 v[46:47], v[14:15], v[46:47]
	v_add_f64 v[16:17], v[14:15], -v[6:7]
	v_add_f64 v[14:15], v[12:13], -v[14:15]
	v_add_f64 v[10:11], v[40:41], v[10:11]
	v_add_f64 v[40:41], v[4:5], v[20:21]
	v_add_f64 v[4:5], v[8:9], -v[4:5]
	v_add_f64 v[20:21], v[20:21], -v[8:9]
	;; [unrolled: 1-line block ×4, first 2 shown]
	v_add_f64 v[54:55], v[52:53], v[54:55]
	v_add_f64 v[2:3], v[2:3], v[46:47]
	;; [unrolled: 1-line block ×3, first 2 shown]
	v_mul_f64 v[40:41], v[42:43], s[6:7]
	v_mul_f64 v[42:43], v[44:45], s[6:7]
	s_mov_b32 s6, 0x429ad128
	s_mov_b32 s7, 0xbfebfeb5
	v_mul_f64 v[44:45], v[26:27], s[6:7]
	v_add_f64 v[0:1], v[0:1], v[54:55]
	v_fma_f64 v[26:27], v[26:27], s[6:7], -v[40:41]
	v_fma_f64 v[48:49], v[4:5], s[12:13], v[42:43]
	v_fma_f64 v[42:43], v[20:21], s[6:7], -v[42:43]
	v_mul_f64 v[20:21], v[20:21], s[6:7]
	v_fma_f64 v[40:41], v[18:19], s[12:13], v[40:41]
	s_mov_b32 s13, 0x3fd5d0dc
	v_fma_f64 v[18:19], v[18:19], s[12:13], -v[44:45]
	s_mov_b32 s6, 0x36b3c0b5
	s_mov_b32 s7, 0x3fac98ee
	v_fma_f64 v[4:5], v[4:5], s[12:13], -v[20:21]
	s_mov_b32 s12, 0x37e14327
	s_mov_b32 s13, 0x3fe948f6
	v_mul_f64 v[20:21], v[22:23], s[12:13]
	v_mul_f64 v[14:15], v[14:15], s[12:13]
	;; [unrolled: 1-line block ×3, first 2 shown]
	s_mov_b32 s12, 0xaaaaaaaa
	s_mov_b32 s13, 0xbff2aaaa
	v_fma_f64 v[44:45], v[24:25], s[16:17], -v[20:21]
	v_fma_f64 v[20:21], v[12:13], s[6:7], v[20:21]
	v_mul_f64 v[12:13], v[12:13], s[6:7]
	v_fma_f64 v[16:17], v[16:17], s[6:7], v[14:15]
	s_mov_b32 s6, 0x37c3f68c
	v_fma_f64 v[14:15], v[6:7], s[16:17], -v[14:15]
	s_mov_b32 s17, 0x3fe77f67
	s_mov_b32 s7, 0xbfdc38aa
	v_fma_f64 v[6:7], v[6:7], s[16:17], -v[22:23]
	v_fma_f64 v[22:23], v[10:11], s[6:7], v[26:27]
	v_fma_f64 v[12:13], v[24:25], s[16:17], -v[12:13]
	v_fma_f64 v[24:25], v[10:11], s[6:7], v[40:41]
	v_fma_f64 v[18:19], v[10:11], s[6:7], v[18:19]
	;; [unrolled: 1-line block ×7, first 2 shown]
	v_add_f64 v[46:47], v[6:7], v[10:11]
	v_add_f64 v[52:53], v[16:17], v[10:11]
	;; [unrolled: 1-line block ×6, first 2 shown]
	v_mul_u32_u24_e32 v26, 28, v56
	v_or_b32_e32 v26, v26, v39
	v_add_f64 v[6:7], v[46:47], -v[22:23]
	v_add_f64 v[10:11], v[22:23], v[46:47]
	v_add_f64 v[22:23], v[52:53], -v[24:25]
	v_add_f64 v[20:21], v[40:41], v[54:55]
	v_add_f64 v[14:15], v[18:19], v[50:51]
	v_add_f64 v[18:19], v[50:51], -v[18:19]
	v_add_f64 v[16:17], v[48:49], v[44:45]
	v_add_f64 v[8:9], v[12:13], -v[42:43]
	;; [unrolled: 2-line block ×3, first 2 shown]
	v_lshlrev_b32_e32 v39, 4, v26
	v_add_f64 v[26:27], v[24:25], v[52:53]
	v_add_f64 v[24:25], v[54:55], -v[40:41]
	v_add3_u32 v38, 0, v39, v38
	ds_write_b128 v38, v[0:3]
	ds_write_b128 v38, v[20:23] offset:64
	ds_write_b128 v38, v[16:19] offset:128
	;; [unrolled: 1-line block ×6, first 2 shown]
.LBB0_17:
	s_or_b64 exec, exec, s[4:5]
	v_mul_u32_u24_e32 v0, 3, v37
	v_lshlrev_b32_e32 v12, 4, v0
	s_waitcnt lgkmcnt(0)
	s_barrier
	global_load_dwordx4 v[0:3], v12, s[22:23] offset:384
	global_load_dwordx4 v[4:7], v12, s[22:23] offset:400
	;; [unrolled: 1-line block ×3, first 2 shown]
	ds_read_b128 v[12:15], v35 offset:448
	ds_read_b128 v[16:19], v35 offset:896
	;; [unrolled: 1-line block ×3, first 2 shown]
	ds_read_b128 v[24:27], v36
	s_waitcnt vmcnt(0) lgkmcnt(0)
	s_barrier
	v_mul_f64 v[37:38], v[14:15], v[2:3]
	v_mul_f64 v[2:3], v[12:13], v[2:3]
	;; [unrolled: 1-line block ×6, first 2 shown]
	v_fma_f64 v[12:13], v[12:13], v[0:1], v[37:38]
	v_fma_f64 v[0:1], v[14:15], v[0:1], -v[2:3]
	v_fma_f64 v[2:3], v[16:17], v[4:5], v[39:40]
	v_fma_f64 v[4:5], v[18:19], v[4:5], -v[6:7]
	;; [unrolled: 2-line block ×3, first 2 shown]
	v_add_f64 v[10:11], v[24:25], -v[2:3]
	v_add_f64 v[14:15], v[26:27], -v[4:5]
	;; [unrolled: 1-line block ×4, first 2 shown]
	v_fma_f64 v[16:17], v[24:25], 2.0, -v[10:11]
	v_fma_f64 v[18:19], v[26:27], 2.0, -v[14:15]
	;; [unrolled: 1-line block ×4, first 2 shown]
	v_add_f64 v[0:1], v[10:11], v[4:5]
	v_add_f64 v[2:3], v[14:15], -v[2:3]
	v_add_f64 v[4:5], v[16:17], -v[6:7]
	;; [unrolled: 1-line block ×3, first 2 shown]
	v_fma_f64 v[8:9], v[10:11], 2.0, -v[0:1]
	v_fma_f64 v[10:11], v[14:15], 2.0, -v[2:3]
	;; [unrolled: 1-line block ×4, first 2 shown]
	ds_write_b128 v35, v[0:3] offset:1344
	ds_write_b128 v35, v[8:11] offset:448
	;; [unrolled: 1-line block ×3, first 2 shown]
	ds_write_b128 v35, v[12:15]
	s_waitcnt lgkmcnt(0)
	s_barrier
	s_and_saveexec_b64 s[4:5], s[0:1]
	s_cbranch_execz .LBB0_19
; %bb.18:
	v_mad_u64_u32 v[4:5], s[0:1], s10, v33, 0
	v_mad_u64_u32 v[6:7], s[0:1], s8, v30, 0
	v_mov_b32_e32 v0, v5
	v_mad_u64_u32 v[0:1], s[0:1], s11, v33, v[0:1]
	v_mov_b32_e32 v1, v7
	s_mul_i32 s3, s3, s20
	s_mul_hi_u32 s4, s2, s20
	v_mad_u64_u32 v[1:2], s[0:1], s9, v30, v[1:2]
	s_add_i32 s1, s4, s3
	s_mul_i32 s0, s2, s20
	s_lshl_b64 s[0:1], s[0:1], 4
	s_add_u32 s0, s14, s0
	v_lshlrev_b64 v[8:9], 4, v[28:29]
	s_addc_u32 s1, s15, s1
	v_mov_b32_e32 v10, s1
	v_add_co_u32_e32 v11, vcc, s0, v8
	v_mov_b32_e32 v5, v0
	v_addc_co_u32_e32 v10, vcc, v10, v9, vcc
	v_mad_u64_u32 v[8:9], s[0:1], s8, v32, 0
	v_lshlrev_b64 v[4:5], 4, v[4:5]
	v_mul_u32_u24_e32 v0, 0x700, v33
	v_mov_b32_e32 v7, v1
	v_add3_u32 v13, 0, v0, v34
	v_add_co_u32_e32 v14, vcc, v11, v4
	ds_read_b128 v[0:3], v13
	v_addc_co_u32_e32 v15, vcc, v10, v5, vcc
	v_lshlrev_b64 v[4:5], 4, v[6:7]
	v_mov_b32_e32 v6, v9
	v_mad_u64_u32 v[9:10], s[0:1], s9, v32, v[6:7]
	v_add_co_u32_e32 v10, vcc, v14, v4
	v_addc_co_u32_e32 v11, vcc, v15, v5, vcc
	ds_read_b128 v[4:7], v13 offset:448
	s_waitcnt lgkmcnt(1)
	global_store_dwordx4 v[10:11], v[0:3], off
	s_nop 0
	v_lshlrev_b64 v[0:1], 4, v[8:9]
	v_mad_u64_u32 v[8:9], s[0:1], s8, v31, 0
	v_add_co_u32_e32 v0, vcc, v14, v0
	v_addc_co_u32_e32 v1, vcc, v15, v1, vcc
	s_waitcnt lgkmcnt(0)
	global_store_dwordx4 v[0:1], v[4:7], off
	v_mov_b32_e32 v0, v9
	v_add_u32_e32 v7, 0x54, v30
	v_mad_u64_u32 v[0:1], s[0:1], s9, v31, v[0:1]
	v_mad_u64_u32 v[10:11], s[0:1], s8, v7, 0
	v_mov_b32_e32 v9, v0
	ds_read_b128 v[0:3], v13 offset:896
	v_mov_b32_e32 v6, v11
	v_lshlrev_b64 v[4:5], 4, v[8:9]
	v_mad_u64_u32 v[8:9], s[0:1], s9, v7, v[6:7]
	v_add_co_u32_e32 v11, vcc, v14, v4
	v_addc_co_u32_e32 v12, vcc, v15, v5, vcc
	ds_read_b128 v[4:7], v13 offset:1344
	s_waitcnt lgkmcnt(1)
	global_store_dwordx4 v[11:12], v[0:3], off
	v_mov_b32_e32 v11, v8
	v_lshlrev_b64 v[0:1], 4, v[10:11]
	v_add_co_u32_e32 v0, vcc, v14, v0
	v_addc_co_u32_e32 v1, vcc, v15, v1, vcc
	s_waitcnt lgkmcnt(0)
	global_store_dwordx4 v[0:1], v[4:7], off
.LBB0_19:
	s_endpgm
	.section	.rodata,"a",@progbits
	.p2align	6, 0x0
	.amdhsa_kernel fft_rtc_back_len112_factors_4_7_4_wgs_448_tpt_28_dp_op_CI_CI_sbcc
		.amdhsa_group_segment_fixed_size 0
		.amdhsa_private_segment_fixed_size 0
		.amdhsa_kernarg_size 112
		.amdhsa_user_sgpr_count 6
		.amdhsa_user_sgpr_private_segment_buffer 1
		.amdhsa_user_sgpr_dispatch_ptr 0
		.amdhsa_user_sgpr_queue_ptr 0
		.amdhsa_user_sgpr_kernarg_segment_ptr 1
		.amdhsa_user_sgpr_dispatch_id 0
		.amdhsa_user_sgpr_flat_scratch_init 0
		.amdhsa_user_sgpr_private_segment_size 0
		.amdhsa_uses_dynamic_stack 0
		.amdhsa_system_sgpr_private_segment_wavefront_offset 0
		.amdhsa_system_sgpr_workgroup_id_x 1
		.amdhsa_system_sgpr_workgroup_id_y 0
		.amdhsa_system_sgpr_workgroup_id_z 0
		.amdhsa_system_sgpr_workgroup_info 0
		.amdhsa_system_vgpr_workitem_id 0
		.amdhsa_next_free_vgpr 57
		.amdhsa_next_free_sgpr 51
		.amdhsa_reserve_vcc 1
		.amdhsa_reserve_flat_scratch 0
		.amdhsa_float_round_mode_32 0
		.amdhsa_float_round_mode_16_64 0
		.amdhsa_float_denorm_mode_32 3
		.amdhsa_float_denorm_mode_16_64 3
		.amdhsa_dx10_clamp 1
		.amdhsa_ieee_mode 1
		.amdhsa_fp16_overflow 0
		.amdhsa_exception_fp_ieee_invalid_op 0
		.amdhsa_exception_fp_denorm_src 0
		.amdhsa_exception_fp_ieee_div_zero 0
		.amdhsa_exception_fp_ieee_overflow 0
		.amdhsa_exception_fp_ieee_underflow 0
		.amdhsa_exception_fp_ieee_inexact 0
		.amdhsa_exception_int_div_zero 0
	.end_amdhsa_kernel
	.text
.Lfunc_end0:
	.size	fft_rtc_back_len112_factors_4_7_4_wgs_448_tpt_28_dp_op_CI_CI_sbcc, .Lfunc_end0-fft_rtc_back_len112_factors_4_7_4_wgs_448_tpt_28_dp_op_CI_CI_sbcc
                                        ; -- End function
	.section	.AMDGPU.csdata,"",@progbits
; Kernel info:
; codeLenInByte = 3972
; NumSgprs: 55
; NumVgprs: 57
; ScratchSize: 0
; MemoryBound: 0
; FloatMode: 240
; IeeeMode: 1
; LDSByteSize: 0 bytes/workgroup (compile time only)
; SGPRBlocks: 6
; VGPRBlocks: 14
; NumSGPRsForWavesPerEU: 55
; NumVGPRsForWavesPerEU: 57
; Occupancy: 4
; WaveLimiterHint : 1
; COMPUTE_PGM_RSRC2:SCRATCH_EN: 0
; COMPUTE_PGM_RSRC2:USER_SGPR: 6
; COMPUTE_PGM_RSRC2:TRAP_HANDLER: 0
; COMPUTE_PGM_RSRC2:TGID_X_EN: 1
; COMPUTE_PGM_RSRC2:TGID_Y_EN: 0
; COMPUTE_PGM_RSRC2:TGID_Z_EN: 0
; COMPUTE_PGM_RSRC2:TIDIG_COMP_CNT: 0
	.type	__hip_cuid_edbe3b5553d9faf7,@object ; @__hip_cuid_edbe3b5553d9faf7
	.section	.bss,"aw",@nobits
	.globl	__hip_cuid_edbe3b5553d9faf7
__hip_cuid_edbe3b5553d9faf7:
	.byte	0                               ; 0x0
	.size	__hip_cuid_edbe3b5553d9faf7, 1

	.ident	"AMD clang version 19.0.0git (https://github.com/RadeonOpenCompute/llvm-project roc-6.4.0 25133 c7fe45cf4b819c5991fe208aaa96edf142730f1d)"
	.section	".note.GNU-stack","",@progbits
	.addrsig
	.addrsig_sym __hip_cuid_edbe3b5553d9faf7
	.amdgpu_metadata
---
amdhsa.kernels:
  - .args:
      - .actual_access:  read_only
        .address_space:  global
        .offset:         0
        .size:           8
        .value_kind:     global_buffer
      - .address_space:  global
        .offset:         8
        .size:           8
        .value_kind:     global_buffer
      - .offset:         16
        .size:           8
        .value_kind:     by_value
      - .actual_access:  read_only
        .address_space:  global
        .offset:         24
        .size:           8
        .value_kind:     global_buffer
      - .actual_access:  read_only
        .address_space:  global
        .offset:         32
        .size:           8
        .value_kind:     global_buffer
      - .actual_access:  read_only
        .address_space:  global
        .offset:         40
        .size:           8
        .value_kind:     global_buffer
      - .offset:         48
        .size:           8
        .value_kind:     by_value
      - .actual_access:  read_only
        .address_space:  global
        .offset:         56
        .size:           8
        .value_kind:     global_buffer
      - .actual_access:  read_only
        .address_space:  global
        .offset:         64
        .size:           8
        .value_kind:     global_buffer
      - .offset:         72
        .size:           4
        .value_kind:     by_value
      - .actual_access:  read_only
        .address_space:  global
        .offset:         80
        .size:           8
        .value_kind:     global_buffer
      - .actual_access:  read_only
        .address_space:  global
        .offset:         88
        .size:           8
        .value_kind:     global_buffer
      - .actual_access:  read_only
        .address_space:  global
        .offset:         96
        .size:           8
        .value_kind:     global_buffer
      - .actual_access:  write_only
        .address_space:  global
        .offset:         104
        .size:           8
        .value_kind:     global_buffer
    .group_segment_fixed_size: 0
    .kernarg_segment_align: 8
    .kernarg_segment_size: 112
    .language:       OpenCL C
    .language_version:
      - 2
      - 0
    .max_flat_workgroup_size: 448
    .name:           fft_rtc_back_len112_factors_4_7_4_wgs_448_tpt_28_dp_op_CI_CI_sbcc
    .private_segment_fixed_size: 0
    .sgpr_count:     55
    .sgpr_spill_count: 0
    .symbol:         fft_rtc_back_len112_factors_4_7_4_wgs_448_tpt_28_dp_op_CI_CI_sbcc.kd
    .uniform_work_group_size: 1
    .uses_dynamic_stack: false
    .vgpr_count:     57
    .vgpr_spill_count: 0
    .wavefront_size: 64
amdhsa.target:   amdgcn-amd-amdhsa--gfx906
amdhsa.version:
  - 1
  - 2
...

	.end_amdgpu_metadata
